;; amdgpu-corpus repo=ROCm/rocFFT kind=compiled arch=gfx906 opt=O3
	.text
	.amdgcn_target "amdgcn-amd-amdhsa--gfx906"
	.amdhsa_code_object_version 6
	.protected	fft_rtc_back_len243_factors_3_3_3_3_3_wgs_216_tpt_27_half_op_CI_CI_sbrc_xy_z_aligned ; -- Begin function fft_rtc_back_len243_factors_3_3_3_3_3_wgs_216_tpt_27_half_op_CI_CI_sbrc_xy_z_aligned
	.globl	fft_rtc_back_len243_factors_3_3_3_3_3_wgs_216_tpt_27_half_op_CI_CI_sbrc_xy_z_aligned
	.p2align	8
	.type	fft_rtc_back_len243_factors_3_3_3_3_3_wgs_216_tpt_27_half_op_CI_CI_sbrc_xy_z_aligned,@function
fft_rtc_back_len243_factors_3_3_3_3_3_wgs_216_tpt_27_half_op_CI_CI_sbrc_xy_z_aligned: ; @fft_rtc_back_len243_factors_3_3_3_3_3_wgs_216_tpt_27_half_op_CI_CI_sbrc_xy_z_aligned
; %bb.0:
	s_load_dwordx4 s[16:19], s[4:5], 0x10
	s_mov_b32 s7, 0
	s_mov_b32 s29, s7
	s_mov_b64 s[30:31], 0
	s_waitcnt lgkmcnt(0)
	s_load_dwordx4 s[20:23], s[16:17], 0x8
	s_load_dwordx2 s[24:25], s[4:5], 0x0
	s_waitcnt lgkmcnt(0)
	s_add_i32 s0, s22, -1
	s_lshr_b32 s0, s0, 3
	s_add_i32 s0, s0, 1
	s_mul_i32 s28, s0, s20
	v_cvt_f32_u32_e32 v1, s28
	s_load_dwordx4 s[0:3], s[4:5], 0x58
	s_load_dwordx2 s[26:27], s[4:5], 0x20
	s_load_dwordx4 s[12:15], s[18:19], 0x0
	s_load_dwordx2 s[22:23], s[18:19], 0x10
	s_waitcnt lgkmcnt(0)
	s_load_dwordx4 s[8:11], s[26:27], 0x0
	s_load_dwordx2 s[16:17], s[26:27], 0x10
	v_rcp_iflag_f32_e32 v1, v1
	s_waitcnt lgkmcnt(0)
	s_sub_i32 s11, 0, s28
	v_mul_f32_e32 v1, 0x4f7ffffe, v1
	v_cvt_u32_f32_e32 v3, v1
	v_mov_b32_e32 v1, s20
	v_mov_b32_e32 v2, s21
	v_readfirstlane_b32 s15, v3
	s_mul_i32 s11, s11, s15
	s_mul_hi_u32 s11, s15, s11
	s_add_i32 s15, s15, s11
	s_mul_hi_u32 s11, s6, s15
	s_mul_i32 s15, s11, s28
	s_sub_i32 s15, s6, s15
	s_add_i32 s17, s11, 1
	s_sub_i32 s23, s15, s28
	s_cmp_ge_u32 s15, s28
	s_cselect_b32 s11, s17, s11
	s_cselect_b32 s15, s23, s15
	s_add_i32 s17, s11, 1
	s_cmp_ge_u32 s15, s28
	s_cselect_b32 s11, s17, s11
	s_mul_i32 s15, s11, s28
	s_sub_i32 s28, s6, s15
	v_cmp_lt_u64_e32 vcc, s[28:29], v[1:2]
	v_cvt_f32_u32_e32 v1, s20
	s_cbranch_vccnz .LBB0_2
; %bb.1:
	v_rcp_iflag_f32_e32 v2, v1
	s_sub_i32 s15, 0, s20
	v_mul_f32_e32 v2, 0x4f7ffffe, v2
	v_cvt_u32_f32_e32 v2, v2
	v_readfirstlane_b32 s17, v2
	s_mul_i32 s15, s15, s17
	s_mul_hi_u32 s15, s17, s15
	s_add_i32 s17, s17, s15
	s_mul_hi_u32 s15, s28, s17
	s_mul_i32 s23, s15, s20
	s_sub_i32 s23, s28, s23
	s_add_i32 s17, s15, 1
	s_sub_i32 s28, s23, s20
	s_cmp_ge_u32 s23, s20
	s_cselect_b32 s15, s17, s15
	s_cselect_b32 s23, s28, s23
	s_add_i32 s17, s15, 1
	s_cmp_ge_u32 s23, s20
	s_cselect_b32 s30, s17, s15
.LBB0_2:
	v_mov_b32_e32 v2, s20
	v_mov_b32_e32 v3, s21
	v_cmp_lt_u64_e32 vcc, s[6:7], v[2:3]
	s_cbranch_vccnz .LBB0_4
; %bb.3:
	v_rcp_iflag_f32_e32 v1, v1
	s_sub_i32 s7, 0, s20
	v_mul_f32_e32 v1, 0x4f7ffffe, v1
	v_cvt_u32_f32_e32 v1, v1
	v_readfirstlane_b32 s15, v1
	s_mul_i32 s7, s7, s15
	s_mul_hi_u32 s7, s15, s7
	s_add_i32 s15, s15, s7
	s_mul_hi_u32 s7, s6, s15
	s_mul_i32 s7, s7, s20
	s_sub_i32 s6, s6, s7
	s_sub_i32 s7, s6, s20
	s_cmp_ge_u32 s6, s20
	s_cselect_b32 s6, s7, s6
	s_sub_i32 s7, s6, s20
	s_cmp_ge_u32 s6, s20
	s_cselect_b32 s6, s7, s6
.LBB0_4:
	s_load_dwordx2 s[20:21], s[4:5], 0x8
	s_lshl_b32 s4, s30, 3
	s_mul_i32 s5, s6, s14
	s_mul_i32 s7, s4, s22
	s_add_i32 s14, s5, s7
	s_mul_i32 s5, s9, s4
	s_mul_hi_u32 s7, s8, s4
	s_add_i32 s5, s7, s5
	s_waitcnt lgkmcnt(0)
	s_lshl_b64 s[20:21], s[20:21], 3
	s_add_u32 s18, s18, s20
	s_addc_u32 s19, s19, s21
	v_mul_u32_u24_e32 v1, 0x10e, v0
	s_load_dwordx2 s[28:29], s[18:19], 0x0
	v_lshrrev_b32_e32 v5, 16, v1
	v_mul_lo_u16_e32 v1, 0xf3, v5
	v_sub_u16_e32 v2, v0, v1
	v_mad_u64_u32 v[3:4], s[30:31], s12, v2, 0
	s_waitcnt lgkmcnt(0)
	s_mul_i32 s7, s29, s11
	s_mul_hi_u32 s17, s28, s11
	s_add_i32 s29, s17, s7
	s_add_u32 s18, s26, s20
	v_mov_b32_e32 v1, v4
	s_addc_u32 s19, s27, s21
	v_mad_u64_u32 v[1:2], s[20:21], s13, v2, v[1:2]
	s_load_dwordx2 s[18:19], s[18:19], 0x0
	s_mul_i32 s28, s28, s11
	v_mov_b32_e32 v4, v1
	v_mul_lo_u32 v1, s22, v5
	v_add_u32_e32 v5, 0xd8, v0
	v_mul_u32_u24_e32 v6, 0x10e, v5
	s_waitcnt lgkmcnt(0)
	s_mul_i32 s7, s19, s11
	s_mul_hi_u32 s17, s18, s11
	v_lshrrev_b32_e32 v8, 16, v6
	s_add_i32 s7, s17, s7
	s_lshl_b64 s[20:21], s[28:29], 2
	v_mul_lo_u16_e32 v6, 0xf3, v8
	s_mov_b32 s15, 0
	s_add_u32 s17, s0, s20
	v_sub_u16_e32 v9, v5, v6
	s_addc_u32 s19, s1, s21
	s_lshl_b64 s[0:1], s[14:15], 2
	v_mad_u64_u32 v[5:6], s[20:21], s12, v9, 0
	s_add_u32 s0, s17, s0
	v_lshlrev_b64 v[3:4], 2, v[3:4]
	s_addc_u32 s1, s19, s1
	v_mov_b32_e32 v2, 0
	v_mov_b32_e32 v7, s1
	v_add_co_u32_e32 v10, vcc, s0, v3
	v_addc_co_u32_e32 v11, vcc, v7, v4, vcc
	v_lshlrev_b64 v[3:4], 2, v[1:2]
	v_mov_b32_e32 v1, v6
	v_mad_u64_u32 v[6:7], s[20:21], s13, v9, v[1:2]
	v_add_u32_e32 v7, 0x1b0, v0
	v_mul_lo_u32 v1, s22, v8
	v_mul_u32_u24_e32 v8, 0x437, v7
	v_add_co_u32_e32 v3, vcc, v10, v3
	v_lshrrev_b32_e32 v10, 18, v8
	v_mul_lo_u16_e32 v8, 0xf3, v10
	v_addc_co_u32_e32 v4, vcc, v11, v4, vcc
	v_sub_u16_e32 v11, v7, v8
	v_mad_u64_u32 v[7:8], s[20:21], s12, v11, 0
	v_lshlrev_b64 v[5:6], 2, v[5:6]
	v_mov_b32_e32 v9, s1
	v_add_co_u32_e32 v12, vcc, s0, v5
	v_addc_co_u32_e32 v13, vcc, v9, v6, vcc
	v_lshlrev_b64 v[5:6], 2, v[1:2]
	v_mov_b32_e32 v1, v8
	v_mad_u64_u32 v[8:9], s[20:21], s13, v11, v[1:2]
	v_add_u32_e32 v9, 0x288, v0
	v_mul_lo_u32 v1, s22, v10
	v_mul_u32_u24_e32 v10, 0x437, v9
	v_add_co_u32_e32 v5, vcc, v12, v5
	v_lshrrev_b32_e32 v12, 18, v10
	v_mul_lo_u16_e32 v10, 0xf3, v12
	v_addc_co_u32_e32 v6, vcc, v13, v6, vcc
	v_sub_u16_e32 v13, v9, v10
	v_mad_u64_u32 v[9:10], s[20:21], s12, v13, 0
	v_lshlrev_b64 v[7:8], 2, v[7:8]
	;; [unrolled: 16-line block ×6, first 2 shown]
	v_mov_b32_e32 v19, s1
	v_add_co_u32_e32 v22, vcc, s0, v15
	v_addc_co_u32_e32 v23, vcc, v19, v16, vcc
	v_lshlrev_b64 v[15:16], 2, v[1:2]
	v_mov_b32_e32 v1, v18
	v_mad_u64_u32 v[18:19], s[20:21], s13, v21, v[1:2]
	v_mul_lo_u32 v1, s22, v20
	v_add_co_u32_e32 v15, vcc, v22, v15
	v_lshlrev_b64 v[17:18], 2, v[17:18]
	v_addc_co_u32_e32 v16, vcc, v23, v16, vcc
	v_mov_b32_e32 v19, s1
	v_add_co_u32_e32 v21, vcc, s0, v17
	v_addc_co_u32_e32 v22, vcc, v19, v18, vcc
	v_lshlrev_b64 v[17:18], 2, v[1:2]
	v_add_u32_e32 v1, 0x6c0, v0
	v_mul_u32_u24_e32 v19, 0x437, v1
	v_lshrrev_b32_e32 v23, 18, v19
	v_mul_lo_u16_e32 v19, 0xf3, v23
	v_sub_u16_e32 v24, v1, v19
	v_mad_u64_u32 v[19:20], s[20:21], s12, v24, 0
	v_add_co_u32_e32 v17, vcc, v21, v17
	v_mov_b32_e32 v1, v20
	v_mad_u64_u32 v[20:21], s[12:13], s13, v24, v[1:2]
	v_mul_lo_u32 v1, s22, v23
	v_addc_co_u32_e32 v18, vcc, v22, v18, vcc
	global_load_dword v21, v[3:4], off
	global_load_dword v22, v[5:6], off
	;; [unrolled: 1-line block ×8, first 2 shown]
	v_lshlrev_b64 v[3:4], 2, v[19:20]
	v_mov_b32_e32 v5, s1
	v_add_co_u32_e32 v6, vcc, s0, v3
	v_addc_co_u32_e32 v5, vcc, v5, v4, vcc
	v_lshlrev_b64 v[3:4], 2, v[1:2]
	s_movk_i32 s0, 0x3aee
	v_add_co_u32_e32 v3, vcc, v6, v3
	v_addc_co_u32_e32 v4, vcc, v5, v4, vcc
	global_load_dword v1, v[3:4], off
	v_lshl_add_u32 v5, v0, 2, 0
	v_add_u32_e32 v6, 0x680, v5
	v_mul_u32_u24_e32 v3, 0x97c, v0
	v_mov_b32_e32 v4, 7
	v_and_b32_sdwa v4, v3, v4 dst_sel:DWORD dst_unused:UNUSED_PAD src0_sel:WORD_1 src1_sel:DWORD
	v_mul_lo_u16_e32 v4, 0xf3, v4
	v_lshlrev_b32_e32 v8, 2, v4
	s_mov_b32 s1, 0xffff
	s_movk_i32 s12, 0x6c
	s_mul_i32 s4, s8, s4
	s_mul_i32 s14, s6, s16
	;; [unrolled: 1-line block ×3, first 2 shown]
	s_waitcnt vmcnt(7)
	ds_write2_b32 v5, v21, v22 offset1:216
	v_mov_b32_e32 v22, 3
	s_waitcnt vmcnt(5)
	ds_write2_b32 v6, v24, v25 offset0:16 offset1:232
	v_add_u32_e32 v6, 0xd00, v5
	s_waitcnt vmcnt(3)
	ds_write2_b32 v6, v26, v27 offset0:32 offset1:248
	v_add_u32_e32 v6, 0x1400, v5
	s_waitcnt vmcnt(1)
	ds_write2_b32 v6, v28, v29 offset0:16 offset1:232
	s_waitcnt vmcnt(0)
	ds_write_b32 v5, v1 offset:6912
	v_mov_b32_e32 v1, 27
	v_mul_lo_u16_sdwa v1, v3, v1 dst_sel:DWORD dst_unused:UNUSED_PAD src0_sel:WORD_1 src1_sel:DWORD
	v_sub_u16_e32 v19, v0, v1
	v_add_u32_e32 v5, 0, v8
	v_lshlrev_b32_e32 v1, 2, v19
	v_add_u32_e32 v3, v5, v1
	s_waitcnt lgkmcnt(0)
	s_barrier
	v_add3_u32 v1, 0, v1, v8
	ds_read_b32 v11, v3
	ds_read2_b32 v[6:7], v1 offset0:81 offset1:108
	ds_read2_b32 v[9:10], v1 offset0:135 offset1:162
	v_lshlrev_b32_e32 v4, 3, v19
	v_add_u32_e32 v16, v1, v4
	s_waitcnt lgkmcnt(1)
	v_pk_add_f16 v12, v11, v6
	s_waitcnt lgkmcnt(0)
	v_pk_add_f16 v14, v12, v10
	v_pk_add_f16 v12, v6, v10
	v_pk_add_f16 v6, v6, v10 neg_lo:[0,1] neg_hi:[0,1]
	v_pk_fma_f16 v11, v12, 0.5, v11 op_sel_hi:[1,0,1] neg_lo:[1,0,0] neg_hi:[1,0,0]
	v_pk_mul_f16 v6, v6, s0 op_sel_hi:[1,0]
	v_pk_add_f16 v15, v11, v6 op_sel:[0,1] op_sel_hi:[1,0] neg_lo:[0,1] neg_hi:[0,1]
	v_pk_add_f16 v6, v11, v6 op_sel:[0,1] op_sel_hi:[1,0]
	ds_read2_b32 v[10:11], v1 offset0:27 offset1:54
	ds_read2_b32 v[12:13], v1 offset0:189 offset1:216
	v_bfi_b32 v17, s1, v15, v6
	s_waitcnt lgkmcnt(0)
	s_barrier
	ds_write2_b32 v16, v14, v17 offset1:1
	v_bfi_b32 v6, s1, v6, v15
	v_pk_add_f16 v14, v10, v7
	v_pk_add_f16 v15, v7, v12
	v_pk_add_f16 v7, v7, v12 neg_lo:[0,1] neg_hi:[0,1]
	v_pk_fma_f16 v10, v15, 0.5, v10 op_sel_hi:[1,0,1] neg_lo:[1,0,0] neg_hi:[1,0,0]
	v_pk_mul_f16 v7, v7, s0 op_sel_hi:[1,0]
	v_pk_add_f16 v15, v10, v7 op_sel:[0,1] op_sel_hi:[1,0] neg_lo:[0,1] neg_hi:[0,1]
	v_pk_add_f16 v7, v10, v7 op_sel:[0,1] op_sel_hi:[1,0]
	v_bfi_b32 v10, s1, v15, v7
	v_bfi_b32 v7, s1, v7, v15
	ds_write2_b32 v16, v6, v7 offset0:2 offset1:83
	v_pk_add_f16 v6, v9, v13
	v_pk_add_f16 v7, v9, v13 neg_lo:[0,1] neg_hi:[0,1]
	v_pk_add_f16 v12, v14, v12
	v_pk_fma_f16 v6, v6, 0.5, v11 op_sel_hi:[1,0,1] neg_lo:[1,0,0] neg_hi:[1,0,0]
	v_pk_mul_f16 v7, v7, s0 op_sel_hi:[1,0]
	ds_write2_b32 v16, v12, v10 offset0:81 offset1:82
	v_pk_add_f16 v10, v11, v9
	v_pk_add_f16 v9, v6, v7 op_sel:[0,1] op_sel_hi:[1,0] neg_lo:[0,1] neg_hi:[0,1]
	v_pk_add_f16 v6, v6, v7 op_sel:[0,1] op_sel_hi:[1,0]
	v_bfi_b32 v7, s1, v9, v6
	v_bfi_b32 v6, s1, v6, v9
	s_movk_i32 s1, 0xab
	ds_write_b32 v16, v6 offset:656
	v_mul_lo_u16_sdwa v6, v19, s1 dst_sel:DWORD dst_unused:UNUSED_PAD src0_sel:BYTE_0 src1_sel:DWORD
	v_lshrrev_b16_e32 v20, 9, v6
	v_mul_lo_u16_e32 v6, 3, v20
	v_sub_u16_e32 v21, v19, v6
	v_pk_add_f16 v10, v10, v13
	v_lshlrev_b32_sdwa v6, v22, v21 dst_sel:DWORD dst_unused:UNUSED_PAD src0_sel:DWORD src1_sel:BYTE_0
	ds_write2_b32 v16, v10, v7 offset0:162 offset1:163
	s_waitcnt lgkmcnt(0)
	s_barrier
	global_load_dwordx2 v[9:10], v6, s[24:25]
	v_add_u32_e32 v6, 27, v19
	v_mul_lo_u16_sdwa v7, v6, s1 dst_sel:DWORD dst_unused:UNUSED_PAD src0_sel:BYTE_0 src1_sel:DWORD
	v_lshrrev_b16_e32 v23, 9, v7
	v_mul_lo_u16_e32 v7, 3, v23
	v_sub_u16_e32 v24, v6, v7
	v_lshlrev_b32_sdwa v7, v22, v24 dst_sel:DWORD dst_unused:UNUSED_PAD src0_sel:DWORD src1_sel:BYTE_0
	global_load_dwordx2 v[11:12], v7, s[24:25]
	v_add_u32_e32 v7, 54, v19
	v_mul_lo_u16_sdwa v13, v7, s1 dst_sel:DWORD dst_unused:UNUSED_PAD src0_sel:BYTE_0 src1_sel:DWORD
	v_lshrrev_b16_e32 v25, 9, v13
	v_mul_lo_u16_e32 v13, 3, v25
	v_sub_u16_e32 v26, v7, v13
	v_lshlrev_b32_sdwa v13, v22, v26 dst_sel:DWORD dst_unused:UNUSED_PAD src0_sel:DWORD src1_sel:BYTE_0
	global_load_dwordx2 v[13:14], v13, s[24:25]
	ds_read2_b32 v[15:16], v1 offset0:81 offset1:108
	ds_read2_b32 v[17:18], v1 offset0:135 offset1:162
	s_mov_b32 s1, 0xbaee
	v_mad_u32_u24 v23, v23, 36, 0
	s_waitcnt lgkmcnt(1)
	v_lshrrev_b32_e32 v27, 16, v15
	s_waitcnt vmcnt(2)
	v_mul_f16_sdwa v28, v9, v15 dst_sel:DWORD dst_unused:UNUSED_PAD src0_sel:WORD_1 src1_sel:DWORD
	v_fma_f16 v28, v9, v27, -v28
	v_mul_f16_sdwa v27, v9, v27 dst_sel:DWORD dst_unused:UNUSED_PAD src0_sel:WORD_1 src1_sel:DWORD
	v_fma_f16 v15, v9, v15, v27
	s_waitcnt lgkmcnt(0)
	v_lshrrev_b32_e32 v9, 16, v18
	v_mul_f16_sdwa v27, v10, v18 dst_sel:DWORD dst_unused:UNUSED_PAD src0_sel:WORD_1 src1_sel:DWORD
	v_fma_f16 v27, v10, v9, -v27
	v_mul_f16_sdwa v9, v10, v9 dst_sel:DWORD dst_unused:UNUSED_PAD src0_sel:WORD_1 src1_sel:DWORD
	v_fma_f16 v18, v10, v18, v9
	v_lshrrev_b32_e32 v9, 16, v16
	s_waitcnt vmcnt(1)
	v_mul_f16_sdwa v10, v11, v9 dst_sel:DWORD dst_unused:UNUSED_PAD src0_sel:WORD_1 src1_sel:DWORD
	v_fma_f16 v29, v11, v16, v10
	v_mul_f16_sdwa v10, v11, v16 dst_sel:DWORD dst_unused:UNUSED_PAD src0_sel:WORD_1 src1_sel:DWORD
	v_fma_f16 v11, v11, v9, -v10
	ds_read2_b32 v[9:10], v1 offset0:189 offset1:216
	v_sub_f16_e32 v32, v28, v27
	s_waitcnt lgkmcnt(0)
	v_lshrrev_b32_e32 v16, 16, v9
	v_mul_f16_sdwa v30, v12, v9 dst_sel:DWORD dst_unused:UNUSED_PAD src0_sel:WORD_1 src1_sel:DWORD
	v_fma_f16 v30, v12, v16, -v30
	v_mul_f16_sdwa v16, v12, v16 dst_sel:DWORD dst_unused:UNUSED_PAD src0_sel:WORD_1 src1_sel:DWORD
	v_fma_f16 v12, v12, v9, v16
	v_lshrrev_b32_e32 v9, 16, v17
	s_waitcnt vmcnt(0)
	v_mul_f16_sdwa v16, v13, v9 dst_sel:DWORD dst_unused:UNUSED_PAD src0_sel:WORD_1 src1_sel:DWORD
	v_fma_f16 v16, v13, v17, v16
	v_mul_f16_sdwa v17, v13, v17 dst_sel:DWORD dst_unused:UNUSED_PAD src0_sel:WORD_1 src1_sel:DWORD
	v_fma_f16 v13, v13, v9, -v17
	v_lshrrev_b32_e32 v9, 16, v10
	v_mul_f16_sdwa v17, v9, v14 dst_sel:DWORD dst_unused:UNUSED_PAD src0_sel:DWORD src1_sel:WORD_1
	v_fma_f16 v17, v10, v14, v17
	v_mul_f16_sdwa v10, v10, v14 dst_sel:DWORD dst_unused:UNUSED_PAD src0_sel:DWORD src1_sel:WORD_1
	v_fma_f16 v14, v9, v14, -v10
	ds_read_b32 v9, v3
	s_waitcnt lgkmcnt(0)
	v_lshrrev_b32_e32 v10, 16, v9
	v_add_f16_e32 v31, v10, v28
	v_add_f16_e32 v31, v31, v27
	;; [unrolled: 1-line block ×3, first 2 shown]
	v_fma_f16 v27, v27, -0.5, v10
	v_add_f16_e32 v10, v15, v18
	v_fma_f16 v28, v10, -0.5, v9
	v_add_f16_e32 v9, v9, v15
	v_mad_u32_u24 v10, v20, 36, 0
	v_mov_b32_e32 v20, 2
	v_add_f16_e32 v9, v9, v18
	v_sub_f16_e32 v15, v15, v18
	v_lshlrev_b32_sdwa v18, v20, v21 dst_sel:DWORD dst_unused:UNUSED_PAD src0_sel:DWORD src1_sel:BYTE_0
	v_add3_u32 v18, v10, v18, v8
	v_pack_b32_f16 v21, v9, v31
	v_fma_f16 v9, v32, s1, v28
	v_fma_f16 v10, v15, s0, v27
	v_pack_b32_f16 v31, v9, v10
	ds_read2_b32 v[9:10], v1 offset0:27 offset1:54
	s_waitcnt lgkmcnt(0)
	s_barrier
	ds_write2_b32 v18, v21, v31 offset1:3
	v_fma_f16 v21, v32, s0, v28
	v_fma_f16 v15, v15, s1, v27
	v_pack_b32_f16 v15, v21, v15
	ds_write_b32 v18, v15 offset:24
	v_lshrrev_b32_e32 v15, 16, v9
	v_add_f16_e32 v18, v15, v11
	v_sub_f16_e32 v21, v11, v30
	v_add_f16_e32 v11, v11, v30
	v_fma_f16 v11, v11, -0.5, v15
	v_add_f16_e32 v15, v9, v29
	v_add_f16_e32 v27, v29, v12
	;; [unrolled: 1-line block ×4, first 2 shown]
	v_sub_f16_e32 v12, v29, v12
	v_lshlrev_b32_sdwa v24, v20, v24 dst_sel:DWORD dst_unused:UNUSED_PAD src0_sel:DWORD src1_sel:BYTE_0
	v_fma_f16 v9, v27, -0.5, v9
	v_add3_u32 v23, v23, v24, v8
	v_pack_b32_f16 v15, v15, v18
	v_fma_f16 v18, v21, s1, v9
	v_fma_f16 v24, v12, s0, v11
	;; [unrolled: 1-line block ×4, first 2 shown]
	v_pack_b32_f16 v9, v9, v11
	ds_write_b32 v23, v9 offset:24
	v_add_f16_e32 v9, v16, v17
	v_pack_b32_f16 v18, v18, v24
	v_fma_f16 v9, v9, -0.5, v10
	v_lshrrev_b32_e32 v11, 16, v10
	v_sub_f16_e32 v12, v13, v14
	ds_write2_b32 v23, v15, v18 offset1:3
	v_fma_f16 v15, v12, s1, v9
	v_fma_f16 v9, v12, s0, v9
	v_add_f16_e32 v12, v11, v13
	v_add_f16_e32 v13, v13, v14
	;; [unrolled: 1-line block ×3, first 2 shown]
	v_fma_f16 v11, v13, -0.5, v11
	v_sub_f16_e32 v13, v16, v17
	v_add_f16_e32 v12, v12, v14
	v_add_f16_e32 v10, v10, v17
	v_fma_f16 v14, v13, s0, v11
	v_fma_f16 v11, v13, s1, v11
	v_mad_u32_u24 v13, v25, 36, 0
	v_lshlrev_b32_sdwa v16, v20, v26 dst_sel:DWORD dst_unused:UNUSED_PAD src0_sel:DWORD src1_sel:BYTE_0
	v_add3_u32 v13, v13, v16, v8
	v_pack_b32_f16 v10, v10, v12
	v_pack_b32_f16 v12, v15, v14
	;; [unrolled: 1-line block ×3, first 2 shown]
	ds_write2_b32 v13, v10, v12 offset1:3
	ds_write_b32 v13, v9 offset:24
	v_mov_b32_e32 v13, 57
	v_mul_lo_u16_sdwa v9, v19, v13 dst_sel:DWORD dst_unused:UNUSED_PAD src0_sel:BYTE_0 src1_sel:DWORD
	v_lshrrev_b16_e32 v21, 9, v9
	v_mul_lo_u16_e32 v9, 9, v21
	v_sub_u16_e32 v19, v19, v9
	v_lshlrev_b32_sdwa v9, v22, v19 dst_sel:DWORD dst_unused:UNUSED_PAD src0_sel:DWORD src1_sel:BYTE_0
	v_mul_lo_u16_sdwa v11, v6, v13 dst_sel:DWORD dst_unused:UNUSED_PAD src0_sel:BYTE_0 src1_sel:DWORD
	s_waitcnt lgkmcnt(0)
	s_barrier
	global_load_dwordx2 v[9:10], v9, s[24:25] offset:24
	v_lshrrev_b16_e32 v23, 9, v11
	v_mul_lo_u16_e32 v11, 9, v23
	v_sub_u16_e32 v24, v6, v11
	v_lshlrev_b32_sdwa v11, v22, v24 dst_sel:DWORD dst_unused:UNUSED_PAD src0_sel:DWORD src1_sel:BYTE_0
	global_load_dwordx2 v[11:12], v11, s[24:25] offset:24
	v_mul_lo_u16_sdwa v13, v7, v13 dst_sel:DWORD dst_unused:UNUSED_PAD src0_sel:BYTE_0 src1_sel:DWORD
	v_lshrrev_b16_e32 v25, 9, v13
	v_mul_lo_u16_e32 v13, 9, v25
	v_sub_u16_e32 v26, v7, v13
	v_lshlrev_b32_sdwa v13, v22, v26 dst_sel:DWORD dst_unused:UNUSED_PAD src0_sel:DWORD src1_sel:BYTE_0
	global_load_dwordx2 v[13:14], v13, s[24:25] offset:24
	ds_read2_b32 v[15:16], v1 offset0:81 offset1:108
	ds_read2_b32 v[17:18], v1 offset0:135 offset1:162
	v_lshlrev_b32_e32 v6, 3, v6
	s_waitcnt lgkmcnt(1)
	v_lshrrev_b32_e32 v22, 16, v15
	v_lshrrev_b32_e32 v28, 16, v16
	s_waitcnt vmcnt(2)
	v_mul_f16_sdwa v27, v9, v15 dst_sel:DWORD dst_unused:UNUSED_PAD src0_sel:WORD_1 src1_sel:DWORD
	v_fma_f16 v27, v9, v22, -v27
	v_mul_f16_sdwa v22, v9, v22 dst_sel:DWORD dst_unused:UNUSED_PAD src0_sel:WORD_1 src1_sel:DWORD
	v_fma_f16 v15, v9, v15, v22
	s_waitcnt lgkmcnt(0)
	v_lshrrev_b32_e32 v9, 16, v18
	v_mul_f16_sdwa v22, v10, v18 dst_sel:DWORD dst_unused:UNUSED_PAD src0_sel:WORD_1 src1_sel:DWORD
	v_fma_f16 v22, v10, v9, -v22
	v_mul_f16_sdwa v9, v10, v9 dst_sel:DWORD dst_unused:UNUSED_PAD src0_sel:WORD_1 src1_sel:DWORD
	v_fma_f16 v18, v10, v18, v9
	s_waitcnt vmcnt(1)
	v_mul_f16_sdwa v9, v11, v28 dst_sel:DWORD dst_unused:UNUSED_PAD src0_sel:WORD_1 src1_sel:DWORD
	v_fma_f16 v29, v11, v16, v9
	ds_read2_b32 v[9:10], v1 offset0:189 offset1:216
	v_mul_f16_sdwa v16, v11, v16 dst_sel:DWORD dst_unused:UNUSED_PAD src0_sel:WORD_1 src1_sel:DWORD
	v_fma_f16 v11, v11, v28, -v16
	v_sub_f16_e32 v31, v27, v22
	s_waitcnt lgkmcnt(0)
	v_lshrrev_b32_e32 v16, 16, v9
	v_mul_f16_sdwa v28, v12, v9 dst_sel:DWORD dst_unused:UNUSED_PAD src0_sel:WORD_1 src1_sel:DWORD
	v_fma_f16 v28, v12, v16, -v28
	v_mul_f16_sdwa v16, v12, v16 dst_sel:DWORD dst_unused:UNUSED_PAD src0_sel:WORD_1 src1_sel:DWORD
	v_fma_f16 v12, v12, v9, v16
	v_lshrrev_b32_e32 v9, 16, v17
	s_waitcnt vmcnt(0)
	v_mul_f16_sdwa v16, v13, v9 dst_sel:DWORD dst_unused:UNUSED_PAD src0_sel:WORD_1 src1_sel:DWORD
	v_fma_f16 v16, v13, v17, v16
	v_mul_f16_sdwa v17, v13, v17 dst_sel:DWORD dst_unused:UNUSED_PAD src0_sel:WORD_1 src1_sel:DWORD
	v_fma_f16 v13, v13, v9, -v17
	v_lshrrev_b32_e32 v9, 16, v10
	v_mul_f16_sdwa v17, v9, v14 dst_sel:DWORD dst_unused:UNUSED_PAD src0_sel:DWORD src1_sel:WORD_1
	v_fma_f16 v17, v10, v14, v17
	v_mul_f16_sdwa v10, v10, v14 dst_sel:DWORD dst_unused:UNUSED_PAD src0_sel:DWORD src1_sel:WORD_1
	v_fma_f16 v14, v9, v14, -v10
	ds_read_b32 v9, v3
	s_waitcnt lgkmcnt(0)
	v_lshrrev_b32_e32 v10, 16, v9
	v_add_f16_e32 v30, v10, v27
	v_add_f16_e32 v30, v30, v22
	;; [unrolled: 1-line block ×3, first 2 shown]
	v_fma_f16 v22, v22, -0.5, v10
	v_add_f16_e32 v10, v15, v18
	v_fma_f16 v27, v10, -0.5, v9
	v_add_f16_e32 v9, v9, v15
	v_add_f16_e32 v9, v9, v18
	v_sub_f16_e32 v15, v15, v18
	v_mad_u32_u24 v10, v21, s12, 0
	v_lshlrev_b32_sdwa v18, v20, v19 dst_sel:DWORD dst_unused:UNUSED_PAD src0_sel:DWORD src1_sel:BYTE_0
	v_add3_u32 v18, v10, v18, v8
	v_pack_b32_f16 v19, v9, v30
	v_fma_f16 v9, v31, s1, v27
	v_fma_f16 v10, v15, s0, v22
	v_pack_b32_f16 v21, v9, v10
	ds_read2_b32 v[9:10], v1 offset0:27 offset1:54
	s_waitcnt lgkmcnt(0)
	s_barrier
	ds_write2_b32 v18, v19, v21 offset1:9
	v_fma_f16 v19, v31, s0, v27
	v_fma_f16 v15, v15, s1, v22
	v_pack_b32_f16 v15, v19, v15
	ds_write_b32 v18, v15 offset:72
	v_lshrrev_b32_e32 v15, 16, v9
	v_add_f16_e32 v18, v15, v11
	v_sub_f16_e32 v19, v11, v28
	v_add_f16_e32 v11, v11, v28
	v_fma_f16 v11, v11, -0.5, v15
	v_add_f16_e32 v15, v9, v29
	v_add_f16_e32 v21, v29, v12
	;; [unrolled: 1-line block ×4, first 2 shown]
	v_sub_f16_e32 v12, v29, v12
	v_fma_f16 v9, v21, -0.5, v9
	v_mad_u32_u24 v22, v23, s12, 0
	v_lshlrev_b32_sdwa v23, v20, v24 dst_sel:DWORD dst_unused:UNUSED_PAD src0_sel:DWORD src1_sel:BYTE_0
	v_pack_b32_f16 v15, v15, v18
	v_fma_f16 v18, v19, s1, v9
	v_fma_f16 v21, v12, s0, v11
	;; [unrolled: 1-line block ×4, first 2 shown]
	v_add3_u32 v22, v22, v23, v8
	v_pack_b32_f16 v9, v9, v11
	ds_write_b32 v22, v9 offset:72
	v_add_f16_e32 v9, v16, v17
	v_pack_b32_f16 v18, v18, v21
	v_fma_f16 v9, v9, -0.5, v10
	v_lshrrev_b32_e32 v11, 16, v10
	v_sub_f16_e32 v12, v13, v14
	ds_write2_b32 v22, v15, v18 offset1:9
	v_fma_f16 v15, v12, s1, v9
	v_fma_f16 v9, v12, s0, v9
	v_add_f16_e32 v12, v11, v13
	v_add_f16_e32 v13, v13, v14
	;; [unrolled: 1-line block ×3, first 2 shown]
	v_fma_f16 v11, v13, -0.5, v11
	v_sub_f16_e32 v13, v16, v17
	v_add_f16_e32 v12, v12, v14
	v_add_f16_e32 v10, v10, v17
	v_fma_f16 v14, v13, s0, v11
	v_fma_f16 v11, v13, s1, v11
	v_mad_u32_u24 v13, v25, s12, 0
	v_lshlrev_b32_sdwa v16, v20, v26 dst_sel:DWORD dst_unused:UNUSED_PAD src0_sel:DWORD src1_sel:BYTE_0
	v_add3_u32 v8, v13, v16, v8
	v_pack_b32_f16 v10, v10, v12
	v_pack_b32_f16 v12, v15, v14
	v_pack_b32_f16 v9, v9, v11
	ds_write2_b32 v8, v10, v12 offset1:9
	ds_write_b32 v8, v9 offset:72
	s_waitcnt lgkmcnt(0)
	s_barrier
	global_load_dwordx2 v[8:9], v4, s[24:25] offset:96
	v_mov_b32_e32 v10, 19
	v_mul_lo_u16_sdwa v10, v7, v10 dst_sel:DWORD dst_unused:UNUSED_PAD src0_sel:BYTE_0 src1_sel:DWORD
	v_lshrrev_b16_e32 v10, 9, v10
	v_mul_lo_u16_e32 v10, 27, v10
	v_sub_u16_e32 v10, v7, v10
	v_and_b32_e32 v16, 0xff, v10
	v_lshlrev_b32_e32 v10, 3, v16
	global_load_dwordx2 v[10:11], v10, s[24:25] offset:96
	ds_read2_b32 v[12:13], v1 offset0:81 offset1:108
	v_lshl_add_u32 v5, v16, 2, v5
	s_waitcnt lgkmcnt(0)
	v_lshrrev_b32_e32 v14, 16, v12
	s_waitcnt vmcnt(1)
	v_mul_f16_sdwa v15, v8, v14 dst_sel:DWORD dst_unused:UNUSED_PAD src0_sel:WORD_1 src1_sel:DWORD
	v_fma_f16 v17, v8, v12, v15
	v_mul_f16_sdwa v12, v8, v12 dst_sel:DWORD dst_unused:UNUSED_PAD src0_sel:WORD_1 src1_sel:DWORD
	v_fma_f16 v18, v8, v14, -v12
	v_lshrrev_b32_e32 v12, 16, v13
	ds_read2_b32 v[14:15], v1 offset0:135 offset1:162
	v_mul_f16_sdwa v19, v8, v12 dst_sel:DWORD dst_unused:UNUSED_PAD src0_sel:WORD_1 src1_sel:DWORD
	v_fma_f16 v19, v8, v13, v19
	v_mul_f16_sdwa v13, v8, v13 dst_sel:DWORD dst_unused:UNUSED_PAD src0_sel:WORD_1 src1_sel:DWORD
	v_fma_f16 v20, v8, v12, -v13
	ds_read2_b32 v[12:13], v1 offset0:189 offset1:216
	s_waitcnt lgkmcnt(1)
	v_lshrrev_b32_e32 v8, 16, v15
	v_mul_f16_sdwa v21, v9, v15 dst_sel:DWORD dst_unused:UNUSED_PAD src0_sel:WORD_1 src1_sel:DWORD
	v_fma_f16 v21, v9, v8, -v21
	v_mul_f16_sdwa v8, v9, v8 dst_sel:DWORD dst_unused:UNUSED_PAD src0_sel:WORD_1 src1_sel:DWORD
	v_fma_f16 v8, v9, v15, v8
	s_waitcnt lgkmcnt(0)
	v_lshrrev_b32_e32 v15, 16, v12
	v_mul_f16_sdwa v22, v9, v12 dst_sel:DWORD dst_unused:UNUSED_PAD src0_sel:WORD_1 src1_sel:DWORD
	v_fma_f16 v22, v9, v15, -v22
	v_mul_f16_sdwa v15, v9, v15 dst_sel:DWORD dst_unused:UNUSED_PAD src0_sel:WORD_1 src1_sel:DWORD
	v_fma_f16 v12, v9, v12, v15
	v_lshrrev_b32_e32 v9, 16, v14
	s_waitcnt vmcnt(0)
	v_mul_f16_sdwa v15, v10, v9 dst_sel:DWORD dst_unused:UNUSED_PAD src0_sel:WORD_1 src1_sel:DWORD
	v_fma_f16 v15, v10, v14, v15
	v_mul_f16_sdwa v14, v10, v14 dst_sel:DWORD dst_unused:UNUSED_PAD src0_sel:WORD_1 src1_sel:DWORD
	v_fma_f16 v10, v10, v9, -v14
	ds_read_b32 v14, v3
	v_lshrrev_b32_e32 v9, 16, v13
	v_mul_f16_sdwa v23, v9, v11 dst_sel:DWORD dst_unused:UNUSED_PAD src0_sel:DWORD src1_sel:WORD_1
	v_fma_f16 v23, v13, v11, v23
	v_mul_f16_sdwa v13, v13, v11 dst_sel:DWORD dst_unused:UNUSED_PAD src0_sel:DWORD src1_sel:WORD_1
	v_fma_f16 v11, v9, v11, -v13
	s_waitcnt lgkmcnt(0)
	v_lshrrev_b32_e32 v9, 16, v14
	v_add_f16_e32 v13, v9, v18
	v_sub_f16_e32 v24, v18, v21
	v_add_f16_e32 v18, v18, v21
	v_fma_f16 v18, v18, -0.5, v9
	v_add_f16_e32 v9, v17, v8
	v_add_f16_e32 v13, v13, v21
	v_fma_f16 v21, v9, -0.5, v14
	v_add_f16_e32 v9, v14, v17
	v_add_f16_e32 v9, v9, v8
	v_sub_f16_e32 v14, v17, v8
	v_pack_b32_f16 v13, v9, v13
	v_fma_f16 v8, v24, s1, v21
	v_fma_f16 v9, v14, s0, v18
	v_pack_b32_f16 v17, v8, v9
	ds_read2_b32 v[8:9], v1 offset0:27 offset1:54
	s_waitcnt lgkmcnt(0)
	s_barrier
	ds_write2_b32 v1, v13, v17 offset1:27
	v_fma_f16 v13, v24, s0, v21
	v_fma_f16 v14, v14, s1, v18
	v_lshrrev_b32_e32 v17, 16, v8
	v_pack_b32_f16 v13, v13, v14
	v_add_f16_e32 v14, v8, v19
	v_add_f16_e32 v18, v17, v20
	;; [unrolled: 1-line block ×4, first 2 shown]
	v_pack_b32_f16 v14, v14, v18
	ds_write2_b32 v1, v13, v14 offset0:54 offset1:81
	v_add_f16_e32 v13, v19, v12
	v_fma_f16 v8, v13, -0.5, v8
	v_sub_f16_e32 v13, v20, v22
	v_fma_f16 v14, v13, s1, v8
	v_fma_f16 v8, v13, s0, v8
	v_add_f16_e32 v13, v20, v22
	v_fma_f16 v13, v13, -0.5, v17
	v_sub_f16_e32 v12, v19, v12
	v_fma_f16 v17, v12, s0, v13
	v_fma_f16 v12, v12, s1, v13
	v_add_f16_e32 v13, v15, v23
	v_fma_f16 v13, v13, -0.5, v9
	v_lshrrev_b32_e32 v18, 16, v9
	v_sub_f16_e32 v19, v10, v11
	v_fma_f16 v20, v19, s1, v13
	v_fma_f16 v13, v19, s0, v13
	v_add_f16_e32 v19, v18, v10
	v_add_f16_e32 v10, v10, v11
	;; [unrolled: 1-line block ×4, first 2 shown]
	v_fma_f16 v10, v10, -0.5, v18
	v_sub_f16_e32 v11, v15, v23
	v_add_f16_e32 v9, v9, v23
	v_fma_f16 v15, v11, s0, v10
	v_fma_f16 v10, v11, s1, v10
	v_pack_b32_f16 v11, v14, v17
	v_pack_b32_f16 v8, v8, v12
	ds_write2_b32 v1, v11, v8 offset0:108 offset1:135
	v_pack_b32_f16 v8, v9, v19
	v_pack_b32_f16 v9, v20, v15
	ds_write2_b32 v5, v8, v9 offset0:162 offset1:189
	v_pack_b32_f16 v8, v13, v10
	ds_write_b32 v5, v8 offset:864
	s_waitcnt lgkmcnt(0)
	s_barrier
	global_load_dwordx2 v[4:5], v4, s[24:25] offset:312
	s_nop 0
	global_load_dwordx2 v[8:9], v6, s[24:25] offset:312
	v_lshlrev_b32_e32 v6, 3, v7
	global_load_dwordx2 v[6:7], v6, s[24:25] offset:312
	ds_read2_b32 v[10:11], v1 offset0:81 offset1:108
	ds_read2_b32 v[12:13], v1 offset0:135 offset1:162
	ds_read_b32 v3, v3
	s_waitcnt lgkmcnt(2)
	v_lshrrev_b32_e32 v14, 16, v10
	v_lshrrev_b32_e32 v16, 16, v11
	s_waitcnt vmcnt(2)
	v_mul_f16_sdwa v15, v4, v14 dst_sel:DWORD dst_unused:UNUSED_PAD src0_sel:WORD_1 src1_sel:DWORD
	v_fma_f16 v15, v4, v10, v15
	v_mul_f16_sdwa v10, v4, v10 dst_sel:DWORD dst_unused:UNUSED_PAD src0_sel:WORD_1 src1_sel:DWORD
	v_fma_f16 v10, v4, v14, -v10
	s_waitcnt lgkmcnt(1)
	v_lshrrev_b32_e32 v4, 16, v13
	v_mul_f16_sdwa v14, v5, v4 dst_sel:DWORD dst_unused:UNUSED_PAD src0_sel:WORD_1 src1_sel:DWORD
	v_fma_f16 v14, v5, v13, v14
	v_mul_f16_sdwa v13, v5, v13 dst_sel:DWORD dst_unused:UNUSED_PAD src0_sel:WORD_1 src1_sel:DWORD
	v_fma_f16 v13, v5, v4, -v13
	ds_read2_b32 v[4:5], v1 offset0:189 offset1:216
	s_waitcnt vmcnt(1)
	v_mul_f16_sdwa v17, v8, v16 dst_sel:DWORD dst_unused:UNUSED_PAD src0_sel:WORD_1 src1_sel:DWORD
	v_fma_f16 v17, v8, v11, v17
	v_mul_f16_sdwa v11, v8, v11 dst_sel:DWORD dst_unused:UNUSED_PAD src0_sel:WORD_1 src1_sel:DWORD
	v_fma_f16 v8, v8, v16, -v11
	s_waitcnt lgkmcnt(0)
	v_lshrrev_b32_e32 v11, 16, v4
	v_mul_f16_sdwa v16, v9, v4 dst_sel:DWORD dst_unused:UNUSED_PAD src0_sel:WORD_1 src1_sel:DWORD
	v_fma_f16 v16, v9, v11, -v16
	v_mul_f16_sdwa v11, v9, v11 dst_sel:DWORD dst_unused:UNUSED_PAD src0_sel:WORD_1 src1_sel:DWORD
	v_fma_f16 v9, v9, v4, v11
	v_lshrrev_b32_e32 v4, 16, v12
	s_waitcnt vmcnt(0)
	v_mul_f16_sdwa v11, v6, v4 dst_sel:DWORD dst_unused:UNUSED_PAD src0_sel:WORD_1 src1_sel:DWORD
	v_fma_f16 v11, v6, v12, v11
	v_mul_f16_sdwa v12, v6, v12 dst_sel:DWORD dst_unused:UNUSED_PAD src0_sel:WORD_1 src1_sel:DWORD
	v_fma_f16 v6, v6, v4, -v12
	v_lshrrev_b32_e32 v4, 16, v5
	v_mul_f16_sdwa v12, v4, v7 dst_sel:DWORD dst_unused:UNUSED_PAD src0_sel:DWORD src1_sel:WORD_1
	v_fma_f16 v12, v5, v7, v12
	v_mul_f16_sdwa v5, v5, v7 dst_sel:DWORD dst_unused:UNUSED_PAD src0_sel:DWORD src1_sel:WORD_1
	v_fma_f16 v5, v4, v7, -v5
	v_add_f16_e32 v4, v15, v14
	v_fma_f16 v4, v4, -0.5, v3
	v_sub_f16_e32 v7, v10, v13
	v_fma_f16 v18, v7, s1, v4
	v_fma_f16 v7, v7, s0, v4
	v_lshrrev_b32_e32 v4, 16, v3
	v_add_f16_e32 v19, v4, v10
	v_add_f16_e32 v10, v10, v13
	;; [unrolled: 1-line block ×5, first 2 shown]
	v_fma_f16 v10, v10, -0.5, v4
	ds_read2_b32 v[3:4], v1 offset0:27 offset1:54
	v_sub_f16_e32 v14, v15, v14
	v_fma_f16 v15, v14, s0, v10
	v_fma_f16 v10, v14, s1, v10
	v_add_f16_e32 v14, v17, v9
	s_waitcnt lgkmcnt(0)
	v_fma_f16 v14, v14, -0.5, v3
	v_sub_f16_e32 v20, v8, v16
	v_fma_f16 v21, v20, s1, v14
	v_fma_f16 v14, v20, s0, v14
	v_lshrrev_b32_e32 v20, 16, v3
	v_add_f16_e32 v22, v20, v8
	v_add_f16_e32 v8, v8, v16
	;; [unrolled: 1-line block ×3, first 2 shown]
	v_fma_f16 v8, v8, -0.5, v20
	v_add_f16_e32 v3, v3, v9
	v_sub_f16_e32 v9, v17, v9
	v_add_f16_e32 v22, v22, v16
	v_fma_f16 v16, v9, s0, v8
	v_fma_f16 v8, v9, s1, v8
	v_add_f16_e32 v9, v11, v12
	v_fma_f16 v9, v9, -0.5, v4
	v_lshrrev_b32_e32 v17, 16, v4
	v_sub_f16_e32 v20, v6, v5
	v_fma_f16 v23, v20, s1, v9
	v_fma_f16 v9, v20, s0, v9
	v_add_f16_e32 v20, v17, v6
	v_add_f16_e32 v20, v20, v5
	;; [unrolled: 1-line block ×4, first 2 shown]
	v_fma_f16 v5, v5, -0.5, v17
	v_sub_f16_e32 v6, v11, v12
	v_add_f16_e32 v4, v4, v12
	v_fma_f16 v11, v6, s0, v5
	v_fma_f16 v5, v6, s1, v5
	v_pack_b32_f16 v6, v13, v19
	v_pack_b32_f16 v7, v7, v10
	;; [unrolled: 1-line block ×4, first 2 shown]
	s_barrier
	ds_write_b32 v1, v7 offset:648
	ds_write2_b32 v1, v6, v3 offset1:27
	ds_write_b16 v1, v21 offset:432
	ds_write_b16 v1, v16 offset:434
	;; [unrolled: 1-line block ×4, first 2 shown]
	v_pack_b32_f16 v3, v4, v20
	v_and_b32_e32 v6, 7, v0
	ds_write2_b32 v1, v3, v12 offset0:54 offset1:81
	ds_write_b16 v1, v23 offset:540
	ds_write_b16 v1, v11 offset:542
	v_mad_u64_u32 v[3:4], s[0:1], s8, v6, 0
	ds_write_b16 v1, v9 offset:864
	ds_write_b16 v1, v5 offset:866
	v_lshrrev_b32_e32 v0, 3, v0
	v_mov_b32_e32 v1, v4
	v_mad_u64_u32 v[4:5], s[0:1], s9, v6, v[1:2]
	s_lshl_b64 s[0:1], s[4:5], 2
	s_add_u32 s2, s2, s0
	s_addc_u32 s3, s3, s1
	s_lshl_b64 s[0:1], s[14:15], 2
	s_add_u32 s2, s2, s0
	v_mul_lo_u32 v1, v0, s10
	s_addc_u32 s3, s3, s1
	s_lshl_b64 s[0:1], s[6:7], 2
	v_mul_u32_u24_e32 v5, 0x3cc, v6
	v_lshlrev_b32_e32 v0, 2, v0
	s_add_u32 s0, s2, s0
	v_lshlrev_b64 v[3:4], 2, v[3:4]
	v_add3_u32 v0, 0, v5, v0
	s_addc_u32 s1, s3, s1
	s_waitcnt lgkmcnt(0)
	s_barrier
	ds_read2_b32 v[5:6], v0 offset1:27
	v_mov_b32_e32 v7, s1
	v_add_co_u32_e32 v8, vcc, s0, v3
	v_addc_co_u32_e32 v7, vcc, v7, v4, vcc
	v_lshlrev_b64 v[3:4], 2, v[1:2]
	s_mul_i32 s0, s10, 27
	v_add_co_u32_e32 v3, vcc, v8, v3
	v_addc_co_u32_e32 v4, vcc, v7, v4, vcc
	v_add_u32_e32 v1, s0, v1
	s_waitcnt lgkmcnt(0)
	global_store_dword v[3:4], v5, off
	v_lshlrev_b64 v[3:4], 2, v[1:2]
	v_add_u32_e32 v1, s0, v1
	v_add_co_u32_e32 v3, vcc, v8, v3
	v_addc_co_u32_e32 v4, vcc, v7, v4, vcc
	global_store_dword v[3:4], v6, off
	ds_read2_b32 v[3:4], v0 offset0:54 offset1:81
	v_lshlrev_b64 v[5:6], 2, v[1:2]
	v_add_u32_e32 v1, s0, v1
	v_add_co_u32_e32 v5, vcc, v8, v5
	v_addc_co_u32_e32 v6, vcc, v7, v6, vcc
	s_waitcnt lgkmcnt(0)
	global_store_dword v[5:6], v3, off
	v_lshlrev_b64 v[5:6], 2, v[1:2]
	v_add_u32_e32 v1, s0, v1
	v_add_co_u32_e32 v5, vcc, v8, v5
	v_addc_co_u32_e32 v6, vcc, v7, v6, vcc
	global_store_dword v[5:6], v4, off
	ds_read2_b32 v[3:4], v0 offset0:108 offset1:135
	v_lshlrev_b64 v[5:6], 2, v[1:2]
	v_add_u32_e32 v1, s0, v1
	v_add_co_u32_e32 v5, vcc, v8, v5
	v_addc_co_u32_e32 v6, vcc, v7, v6, vcc
	;; [unrolled: 12-line block ×3, first 2 shown]
	s_waitcnt lgkmcnt(0)
	global_store_dword v[5:6], v3, off
	v_lshlrev_b64 v[5:6], 2, v[1:2]
	v_add_u32_e32 v1, s0, v1
	ds_read_b32 v3, v0 offset:864
	v_add_co_u32_e32 v5, vcc, v8, v5
	v_lshlrev_b64 v[0:1], 2, v[1:2]
	v_addc_co_u32_e32 v6, vcc, v7, v6, vcc
	v_add_co_u32_e32 v0, vcc, v8, v0
	v_addc_co_u32_e32 v1, vcc, v7, v1, vcc
	global_store_dword v[5:6], v4, off
	s_waitcnt lgkmcnt(0)
	global_store_dword v[0:1], v3, off
	s_endpgm
	.section	.rodata,"a",@progbits
	.p2align	6, 0x0
	.amdhsa_kernel fft_rtc_back_len243_factors_3_3_3_3_3_wgs_216_tpt_27_half_op_CI_CI_sbrc_xy_z_aligned
		.amdhsa_group_segment_fixed_size 0
		.amdhsa_private_segment_fixed_size 0
		.amdhsa_kernarg_size 104
		.amdhsa_user_sgpr_count 6
		.amdhsa_user_sgpr_private_segment_buffer 1
		.amdhsa_user_sgpr_dispatch_ptr 0
		.amdhsa_user_sgpr_queue_ptr 0
		.amdhsa_user_sgpr_kernarg_segment_ptr 1
		.amdhsa_user_sgpr_dispatch_id 0
		.amdhsa_user_sgpr_flat_scratch_init 0
		.amdhsa_user_sgpr_private_segment_size 0
		.amdhsa_uses_dynamic_stack 0
		.amdhsa_system_sgpr_private_segment_wavefront_offset 0
		.amdhsa_system_sgpr_workgroup_id_x 1
		.amdhsa_system_sgpr_workgroup_id_y 0
		.amdhsa_system_sgpr_workgroup_id_z 0
		.amdhsa_system_sgpr_workgroup_info 0
		.amdhsa_system_vgpr_workitem_id 0
		.amdhsa_next_free_vgpr 33
		.amdhsa_next_free_sgpr 32
		.amdhsa_reserve_vcc 1
		.amdhsa_reserve_flat_scratch 0
		.amdhsa_float_round_mode_32 0
		.amdhsa_float_round_mode_16_64 0
		.amdhsa_float_denorm_mode_32 3
		.amdhsa_float_denorm_mode_16_64 3
		.amdhsa_dx10_clamp 1
		.amdhsa_ieee_mode 1
		.amdhsa_fp16_overflow 0
		.amdhsa_exception_fp_ieee_invalid_op 0
		.amdhsa_exception_fp_denorm_src 0
		.amdhsa_exception_fp_ieee_div_zero 0
		.amdhsa_exception_fp_ieee_overflow 0
		.amdhsa_exception_fp_ieee_underflow 0
		.amdhsa_exception_fp_ieee_inexact 0
		.amdhsa_exception_int_div_zero 0
	.end_amdhsa_kernel
	.text
.Lfunc_end0:
	.size	fft_rtc_back_len243_factors_3_3_3_3_3_wgs_216_tpt_27_half_op_CI_CI_sbrc_xy_z_aligned, .Lfunc_end0-fft_rtc_back_len243_factors_3_3_3_3_3_wgs_216_tpt_27_half_op_CI_CI_sbrc_xy_z_aligned
                                        ; -- End function
	.section	.AMDGPU.csdata,"",@progbits
; Kernel info:
; codeLenInByte = 5616
; NumSgprs: 36
; NumVgprs: 33
; ScratchSize: 0
; MemoryBound: 0
; FloatMode: 240
; IeeeMode: 1
; LDSByteSize: 0 bytes/workgroup (compile time only)
; SGPRBlocks: 4
; VGPRBlocks: 8
; NumSGPRsForWavesPerEU: 36
; NumVGPRsForWavesPerEU: 33
; Occupancy: 7
; WaveLimiterHint : 1
; COMPUTE_PGM_RSRC2:SCRATCH_EN: 0
; COMPUTE_PGM_RSRC2:USER_SGPR: 6
; COMPUTE_PGM_RSRC2:TRAP_HANDLER: 0
; COMPUTE_PGM_RSRC2:TGID_X_EN: 1
; COMPUTE_PGM_RSRC2:TGID_Y_EN: 0
; COMPUTE_PGM_RSRC2:TGID_Z_EN: 0
; COMPUTE_PGM_RSRC2:TIDIG_COMP_CNT: 0
	.type	__hip_cuid_6f352cf4045f9cf2,@object ; @__hip_cuid_6f352cf4045f9cf2
	.section	.bss,"aw",@nobits
	.globl	__hip_cuid_6f352cf4045f9cf2
__hip_cuid_6f352cf4045f9cf2:
	.byte	0                               ; 0x0
	.size	__hip_cuid_6f352cf4045f9cf2, 1

	.ident	"AMD clang version 19.0.0git (https://github.com/RadeonOpenCompute/llvm-project roc-6.4.0 25133 c7fe45cf4b819c5991fe208aaa96edf142730f1d)"
	.section	".note.GNU-stack","",@progbits
	.addrsig
	.addrsig_sym __hip_cuid_6f352cf4045f9cf2
	.amdgpu_metadata
---
amdhsa.kernels:
  - .args:
      - .actual_access:  read_only
        .address_space:  global
        .offset:         0
        .size:           8
        .value_kind:     global_buffer
      - .offset:         8
        .size:           8
        .value_kind:     by_value
      - .actual_access:  read_only
        .address_space:  global
        .offset:         16
        .size:           8
        .value_kind:     global_buffer
      - .actual_access:  read_only
        .address_space:  global
        .offset:         24
        .size:           8
        .value_kind:     global_buffer
      - .actual_access:  read_only
        .address_space:  global
        .offset:         32
        .size:           8
        .value_kind:     global_buffer
      - .offset:         40
        .size:           8
        .value_kind:     by_value
      - .actual_access:  read_only
        .address_space:  global
        .offset:         48
        .size:           8
        .value_kind:     global_buffer
      - .actual_access:  read_only
        .address_space:  global
        .offset:         56
        .size:           8
        .value_kind:     global_buffer
      - .offset:         64
        .size:           4
        .value_kind:     by_value
      - .actual_access:  read_only
        .address_space:  global
        .offset:         72
        .size:           8
        .value_kind:     global_buffer
      - .actual_access:  read_only
        .address_space:  global
        .offset:         80
        .size:           8
        .value_kind:     global_buffer
      - .actual_access:  read_only
        .address_space:  global
        .offset:         88
        .size:           8
        .value_kind:     global_buffer
      - .actual_access:  write_only
        .address_space:  global
        .offset:         96
        .size:           8
        .value_kind:     global_buffer
    .group_segment_fixed_size: 0
    .kernarg_segment_align: 8
    .kernarg_segment_size: 104
    .language:       OpenCL C
    .language_version:
      - 2
      - 0
    .max_flat_workgroup_size: 216
    .name:           fft_rtc_back_len243_factors_3_3_3_3_3_wgs_216_tpt_27_half_op_CI_CI_sbrc_xy_z_aligned
    .private_segment_fixed_size: 0
    .sgpr_count:     36
    .sgpr_spill_count: 0
    .symbol:         fft_rtc_back_len243_factors_3_3_3_3_3_wgs_216_tpt_27_half_op_CI_CI_sbrc_xy_z_aligned.kd
    .uniform_work_group_size: 1
    .uses_dynamic_stack: false
    .vgpr_count:     33
    .vgpr_spill_count: 0
    .wavefront_size: 64
amdhsa.target:   amdgcn-amd-amdhsa--gfx906
amdhsa.version:
  - 1
  - 2
...

	.end_amdgpu_metadata
